;; amdgpu-corpus repo=ROCm/rocm-libraries kind=compiled arch=gfx1100 opt=O3
	.text
	.amdgcn_target "amdgcn-amd-amdhsa--gfx1100"
	.amdhsa_code_object_version 6
	.section	.text._Z18row_scatter_gatherILi8ELi256ELi256ELi8EiDF16_EvPKT3_S2_PKT4_PS3_iii,"axG",@progbits,_Z18row_scatter_gatherILi8ELi256ELi256ELi8EiDF16_EvPKT3_S2_PKT4_PS3_iii,comdat
	.protected	_Z18row_scatter_gatherILi8ELi256ELi256ELi8EiDF16_EvPKT3_S2_PKT4_PS3_iii ; -- Begin function _Z18row_scatter_gatherILi8ELi256ELi256ELi8EiDF16_EvPKT3_S2_PKT4_PS3_iii
	.globl	_Z18row_scatter_gatherILi8ELi256ELi256ELi8EiDF16_EvPKT3_S2_PKT4_PS3_iii
	.p2align	8
	.type	_Z18row_scatter_gatherILi8ELi256ELi256ELi8EiDF16_EvPKT3_S2_PKT4_PS3_iii,@function
_Z18row_scatter_gatherILi8ELi256ELi256ELi8EiDF16_EvPKT3_S2_PKT4_PS3_iii: ; @_Z18row_scatter_gatherILi8ELi256ELi256ELi8EiDF16_EvPKT3_S2_PKT4_PS3_iii
; %bb.0:
	s_load_b32 s12, s[0:1], 0x28
	v_lshrrev_b32_e32 v0, 5, v0
	s_delay_alu instid0(VALU_DEP_1)
	v_readfirstlane_b32 s2, v0
	s_waitcnt lgkmcnt(0)
	s_cmp_lt_i32 s12, 1
	s_cbranch_scc1 .LBB0_3
; %bb.1:
	s_clause 0x1
	s_load_b256 s[4:11], s[0:1], 0x0
	s_load_b32 s13, s[0:1], 0x20
	s_lshl_b32 s0, s15, 3
	v_mov_b32_e32 v0, 0
	s_add_i32 s0, s2, s0
	v_mbcnt_lo_u32_b32 v2, -1, 0
	s_ashr_i32 s1, s0, 31
	s_delay_alu instid0(SALU_CYCLE_1) | instskip(NEXT) | instid1(VALU_DEP_1)
	s_lshl_b64 s[0:1], s[0:1], 2
	v_lshlrev_b32_e32 v2, 4, v2
	s_waitcnt lgkmcnt(0)
	s_add_u32 s2, s4, s0
	s_addc_u32 s3, s5, s1
	s_add_i32 s4, s13, -1
	s_add_i32 s5, s12, -1
	s_ashr_i32 s13, s4, 31
	s_mul_hi_u32 s14, s4, s12
	s_mul_i32 s13, s13, s12
	s_mul_i32 s4, s4, s12
	s_ashr_i32 s15, s5, 31
	s_add_i32 s14, s14, s13
	s_add_u32 s4, s4, s5
	s_addc_u32 s5, s14, s15
	s_add_u32 s4, s4, 1
	s_addc_u32 s5, s5, 0
	s_mov_b32 s13, 0
	v_cmp_gt_i64_e64 s5, 0x7fffffff, s[4:5]
	s_delay_alu instid0(VALU_DEP_1)
	s_and_b32 s5, s5, exec_lo
	s_cselect_b32 s4, s4, 0x7fffffff
	s_add_u32 s0, s6, s0
	s_addc_u32 s1, s7, s1
	s_clause 0x1
	global_load_b32 v1, v0, s[2:3]
	global_load_b32 v0, v0, s[0:1]
	s_lshl_b32 s2, s4, 1
	s_mov_b32 s3, 0x31004000
	s_mov_b32 s0, s8
	;; [unrolled: 1-line block ×7, first 2 shown]
	s_waitcnt vmcnt(1)
	v_mul_lo_u32 v1, v1, s12
	s_waitcnt vmcnt(0)
	v_mul_lo_u32 v3, v0, s12
	s_delay_alu instid0(VALU_DEP_2) | instskip(NEXT) | instid1(VALU_DEP_2)
	v_lshl_add_u32 v0, v1, 1, v2
	v_lshl_add_u32 v1, v3, 1, v2
.LBB0_2:                                ; =>This Inner Loop Header: Depth=1
	buffer_load_b128 v[2:5], v0, s[0:3], 0 offen
	v_add_nc_u32_e32 v0, 0x200, v0
	s_addk_i32 s13, 0x100
	s_delay_alu instid0(SALU_CYCLE_1)
	s_cmp_ge_i32 s13, s12
	s_waitcnt vmcnt(0)
	buffer_store_b128 v[2:5], v1, s[4:7], 0 offen
	v_add_nc_u32_e32 v1, 0x200, v1
	s_cbranch_scc0 .LBB0_2
.LBB0_3:
	s_nop 0
	s_sendmsg sendmsg(MSG_DEALLOC_VGPRS)
	s_endpgm
	.section	.rodata,"a",@progbits
	.p2align	6, 0x0
	.amdhsa_kernel _Z18row_scatter_gatherILi8ELi256ELi256ELi8EiDF16_EvPKT3_S2_PKT4_PS3_iii
		.amdhsa_group_segment_fixed_size 0
		.amdhsa_private_segment_fixed_size 0
		.amdhsa_kernarg_size 44
		.amdhsa_user_sgpr_count 15
		.amdhsa_user_sgpr_dispatch_ptr 0
		.amdhsa_user_sgpr_queue_ptr 0
		.amdhsa_user_sgpr_kernarg_segment_ptr 1
		.amdhsa_user_sgpr_dispatch_id 0
		.amdhsa_user_sgpr_private_segment_size 0
		.amdhsa_wavefront_size32 1
		.amdhsa_uses_dynamic_stack 0
		.amdhsa_enable_private_segment 0
		.amdhsa_system_sgpr_workgroup_id_x 1
		.amdhsa_system_sgpr_workgroup_id_y 0
		.amdhsa_system_sgpr_workgroup_id_z 0
		.amdhsa_system_sgpr_workgroup_info 0
		.amdhsa_system_vgpr_workitem_id 0
		.amdhsa_next_free_vgpr 6
		.amdhsa_next_free_sgpr 16
		.amdhsa_reserve_vcc 0
		.amdhsa_float_round_mode_32 0
		.amdhsa_float_round_mode_16_64 0
		.amdhsa_float_denorm_mode_32 3
		.amdhsa_float_denorm_mode_16_64 3
		.amdhsa_dx10_clamp 1
		.amdhsa_ieee_mode 1
		.amdhsa_fp16_overflow 0
		.amdhsa_workgroup_processor_mode 1
		.amdhsa_memory_ordered 1
		.amdhsa_forward_progress 0
		.amdhsa_shared_vgpr_count 0
		.amdhsa_exception_fp_ieee_invalid_op 0
		.amdhsa_exception_fp_denorm_src 0
		.amdhsa_exception_fp_ieee_div_zero 0
		.amdhsa_exception_fp_ieee_overflow 0
		.amdhsa_exception_fp_ieee_underflow 0
		.amdhsa_exception_fp_ieee_inexact 0
		.amdhsa_exception_int_div_zero 0
	.end_amdhsa_kernel
	.section	.text._Z18row_scatter_gatherILi8ELi256ELi256ELi8EiDF16_EvPKT3_S2_PKT4_PS3_iii,"axG",@progbits,_Z18row_scatter_gatherILi8ELi256ELi256ELi8EiDF16_EvPKT3_S2_PKT4_PS3_iii,comdat
.Lfunc_end0:
	.size	_Z18row_scatter_gatherILi8ELi256ELi256ELi8EiDF16_EvPKT3_S2_PKT4_PS3_iii, .Lfunc_end0-_Z18row_scatter_gatherILi8ELi256ELi256ELi8EiDF16_EvPKT3_S2_PKT4_PS3_iii
                                        ; -- End function
	.section	.AMDGPU.csdata,"",@progbits
; Kernel info:
; codeLenInByte = 352
; NumSgprs: 16
; NumVgprs: 6
; ScratchSize: 0
; MemoryBound: 0
; FloatMode: 240
; IeeeMode: 1
; LDSByteSize: 0 bytes/workgroup (compile time only)
; SGPRBlocks: 1
; VGPRBlocks: 0
; NumSGPRsForWavesPerEU: 16
; NumVGPRsForWavesPerEU: 6
; Occupancy: 16
; WaveLimiterHint : 0
; COMPUTE_PGM_RSRC2:SCRATCH_EN: 0
; COMPUTE_PGM_RSRC2:USER_SGPR: 15
; COMPUTE_PGM_RSRC2:TRAP_HANDLER: 0
; COMPUTE_PGM_RSRC2:TGID_X_EN: 1
; COMPUTE_PGM_RSRC2:TGID_Y_EN: 0
; COMPUTE_PGM_RSRC2:TGID_Z_EN: 0
; COMPUTE_PGM_RSRC2:TIDIG_COMP_CNT: 0
	.text
	.p2alignl 7, 3214868480
	.fill 96, 4, 3214868480
	.type	__hip_cuid_b7789ceaee3b0e15,@object ; @__hip_cuid_b7789ceaee3b0e15
	.section	.bss,"aw",@nobits
	.globl	__hip_cuid_b7789ceaee3b0e15
__hip_cuid_b7789ceaee3b0e15:
	.byte	0                               ; 0x0
	.size	__hip_cuid_b7789ceaee3b0e15, 1

	.ident	"AMD clang version 19.0.0git (https://github.com/RadeonOpenCompute/llvm-project roc-6.4.0 25133 c7fe45cf4b819c5991fe208aaa96edf142730f1d)"
	.section	".note.GNU-stack","",@progbits
	.addrsig
	.addrsig_sym __hip_cuid_b7789ceaee3b0e15
	.amdgpu_metadata
---
amdhsa.kernels:
  - .args:
      - .address_space:  global
        .offset:         0
        .size:           8
        .value_kind:     global_buffer
      - .address_space:  global
        .offset:         8
        .size:           8
        .value_kind:     global_buffer
      - .address_space:  global
        .offset:         16
        .size:           8
        .value_kind:     global_buffer
      - .address_space:  global
        .offset:         24
        .size:           8
        .value_kind:     global_buffer
      - .offset:         32
        .size:           4
        .value_kind:     by_value
      - .offset:         36
        .size:           4
        .value_kind:     by_value
      - .offset:         40
        .size:           4
        .value_kind:     by_value
    .group_segment_fixed_size: 0
    .kernarg_segment_align: 8
    .kernarg_segment_size: 44
    .language:       OpenCL C
    .language_version:
      - 2
      - 0
    .max_flat_workgroup_size: 1024
    .name:           _Z18row_scatter_gatherILi8ELi256ELi256ELi8EiDF16_EvPKT3_S2_PKT4_PS3_iii
    .private_segment_fixed_size: 0
    .sgpr_count:     16
    .sgpr_spill_count: 0
    .symbol:         _Z18row_scatter_gatherILi8ELi256ELi256ELi8EiDF16_EvPKT3_S2_PKT4_PS3_iii.kd
    .uniform_work_group_size: 1
    .uses_dynamic_stack: false
    .vgpr_count:     6
    .vgpr_spill_count: 0
    .wavefront_size: 32
    .workgroup_processor_mode: 1
amdhsa.target:   amdgcn-amd-amdhsa--gfx1100
amdhsa.version:
  - 1
  - 2
...

	.end_amdgpu_metadata
